;; amdgpu-corpus repo=ROCm/rocFFT kind=compiled arch=gfx950 opt=O3
	.text
	.amdgcn_target "amdgcn-amd-amdhsa--gfx950"
	.amdhsa_code_object_version 6
	.protected	fft_rtc_back_len990_factors_2_3_3_5_11_wgs_110_tpt_110_sp_op_CI_CI_sbrr_dirReg ; -- Begin function fft_rtc_back_len990_factors_2_3_3_5_11_wgs_110_tpt_110_sp_op_CI_CI_sbrr_dirReg
	.globl	fft_rtc_back_len990_factors_2_3_3_5_11_wgs_110_tpt_110_sp_op_CI_CI_sbrr_dirReg
	.p2align	8
	.type	fft_rtc_back_len990_factors_2_3_3_5_11_wgs_110_tpt_110_sp_op_CI_CI_sbrr_dirReg,@function
fft_rtc_back_len990_factors_2_3_3_5_11_wgs_110_tpt_110_sp_op_CI_CI_sbrr_dirReg: ; @fft_rtc_back_len990_factors_2_3_3_5_11_wgs_110_tpt_110_sp_op_CI_CI_sbrr_dirReg
; %bb.0:
	s_load_dwordx4 s[12:15], s[0:1], 0x18
	s_load_dwordx4 s[8:11], s[0:1], 0x0
	;; [unrolled: 1-line block ×3, first 2 shown]
	v_mul_u32_u24_e32 v1, 0x254, v0
	v_add_u32_sdwa v6, s2, v1 dst_sel:DWORD dst_unused:UNUSED_PAD src0_sel:DWORD src1_sel:WORD_1
	s_waitcnt lgkmcnt(0)
	s_load_dwordx2 s[18:19], s[12:13], 0x0
	s_load_dwordx2 s[16:17], s[14:15], 0x0
	v_mov_b32_e32 v4, 0
	v_cmp_lt_u64_e64 s[2:3], s[10:11], 2
	v_mov_b32_e32 v7, v4
	s_and_b64 vcc, exec, s[2:3]
	v_mov_b64_e32 v[2:3], 0
	s_cbranch_vccnz .LBB0_8
; %bb.1:
	s_load_dwordx2 s[2:3], s[0:1], 0x10
	s_add_u32 s20, s14, 8
	s_addc_u32 s21, s15, 0
	s_add_u32 s22, s12, 8
	s_addc_u32 s23, s13, 0
	s_waitcnt lgkmcnt(0)
	s_add_u32 s24, s2, 8
	v_mov_b64_e32 v[2:3], 0
	s_addc_u32 s25, s3, 0
	s_mov_b64 s[26:27], 1
	v_mov_b64_e32 v[20:21], v[2:3]
.LBB0_2:                                ; =>This Inner Loop Header: Depth=1
	s_load_dwordx2 s[28:29], s[24:25], 0x0
                                        ; implicit-def: $vgpr22_vgpr23
	s_waitcnt lgkmcnt(0)
	v_or_b32_e32 v5, s29, v7
	v_cmp_ne_u64_e32 vcc, 0, v[4:5]
	s_and_saveexec_b64 s[2:3], vcc
	s_xor_b64 s[30:31], exec, s[2:3]
	s_cbranch_execz .LBB0_4
; %bb.3:                                ;   in Loop: Header=BB0_2 Depth=1
	v_cvt_f32_u32_e32 v1, s28
	v_cvt_f32_u32_e32 v5, s29
	s_sub_u32 s2, 0, s28
	s_subb_u32 s3, 0, s29
	v_fmac_f32_e32 v1, 0x4f800000, v5
	v_rcp_f32_e32 v1, v1
	s_nop 0
	v_mul_f32_e32 v1, 0x5f7ffffc, v1
	v_mul_f32_e32 v5, 0x2f800000, v1
	v_trunc_f32_e32 v5, v5
	v_fmac_f32_e32 v1, 0xcf800000, v5
	v_cvt_u32_f32_e32 v5, v5
	v_cvt_u32_f32_e32 v1, v1
	v_mul_lo_u32 v8, s2, v5
	v_mul_hi_u32 v10, s2, v1
	v_mul_lo_u32 v9, s3, v1
	v_add_u32_e32 v10, v10, v8
	v_mul_lo_u32 v12, s2, v1
	v_add_u32_e32 v13, v10, v9
	v_mul_hi_u32 v8, v1, v12
	v_mul_hi_u32 v11, v1, v13
	v_mul_lo_u32 v10, v1, v13
	v_mov_b32_e32 v9, v4
	v_lshl_add_u64 v[8:9], v[8:9], 0, v[10:11]
	v_mul_hi_u32 v11, v5, v12
	v_mul_lo_u32 v12, v5, v12
	v_add_co_u32_e32 v8, vcc, v8, v12
	v_mul_hi_u32 v10, v5, v13
	s_nop 0
	v_addc_co_u32_e32 v8, vcc, v9, v11, vcc
	v_mov_b32_e32 v9, v4
	s_nop 0
	v_addc_co_u32_e32 v11, vcc, 0, v10, vcc
	v_mul_lo_u32 v10, v5, v13
	v_lshl_add_u64 v[8:9], v[8:9], 0, v[10:11]
	v_add_co_u32_e32 v1, vcc, v1, v8
	v_mul_lo_u32 v10, s2, v1
	s_nop 0
	v_addc_co_u32_e32 v5, vcc, v5, v9, vcc
	v_mul_lo_u32 v8, s2, v5
	v_mul_hi_u32 v9, s2, v1
	v_add_u32_e32 v8, v9, v8
	v_mul_lo_u32 v9, s3, v1
	v_add_u32_e32 v12, v8, v9
	v_mul_hi_u32 v14, v5, v10
	v_mul_lo_u32 v15, v5, v10
	v_mul_hi_u32 v9, v1, v12
	v_mul_lo_u32 v8, v1, v12
	v_mul_hi_u32 v10, v1, v10
	v_mov_b32_e32 v11, v4
	v_lshl_add_u64 v[8:9], v[10:11], 0, v[8:9]
	v_add_co_u32_e32 v8, vcc, v8, v15
	v_mul_hi_u32 v13, v5, v12
	s_nop 0
	v_addc_co_u32_e32 v8, vcc, v9, v14, vcc
	v_mul_lo_u32 v10, v5, v12
	s_nop 0
	v_addc_co_u32_e32 v11, vcc, 0, v13, vcc
	v_mov_b32_e32 v9, v4
	v_lshl_add_u64 v[8:9], v[8:9], 0, v[10:11]
	v_add_co_u32_e32 v1, vcc, v1, v8
	v_mul_hi_u32 v10, v6, v1
	s_nop 0
	v_addc_co_u32_e32 v5, vcc, v5, v9, vcc
	v_mad_u64_u32 v[8:9], s[2:3], v6, v5, 0
	v_mov_b32_e32 v11, v4
	v_lshl_add_u64 v[8:9], v[10:11], 0, v[8:9]
	v_mad_u64_u32 v[12:13], s[2:3], v7, v1, 0
	v_add_co_u32_e32 v1, vcc, v8, v12
	v_mad_u64_u32 v[10:11], s[2:3], v7, v5, 0
	s_nop 0
	v_addc_co_u32_e32 v8, vcc, v9, v13, vcc
	v_mov_b32_e32 v9, v4
	s_nop 0
	v_addc_co_u32_e32 v11, vcc, 0, v11, vcc
	v_lshl_add_u64 v[8:9], v[8:9], 0, v[10:11]
	v_mul_lo_u32 v1, s29, v8
	v_mul_lo_u32 v5, s28, v9
	v_mad_u64_u32 v[10:11], s[2:3], s28, v8, 0
	v_add3_u32 v1, v11, v5, v1
	v_sub_u32_e32 v5, v7, v1
	v_mov_b32_e32 v11, s29
	v_sub_co_u32_e32 v14, vcc, v6, v10
	v_lshl_add_u64 v[12:13], v[8:9], 0, 1
	s_nop 0
	v_subb_co_u32_e64 v5, s[2:3], v5, v11, vcc
	v_subrev_co_u32_e64 v10, s[2:3], s28, v14
	v_subb_co_u32_e32 v1, vcc, v7, v1, vcc
	s_nop 0
	v_subbrev_co_u32_e64 v5, s[2:3], 0, v5, s[2:3]
	v_cmp_le_u32_e64 s[2:3], s29, v5
	v_cmp_le_u32_e32 vcc, s29, v1
	s_nop 0
	v_cndmask_b32_e64 v11, 0, -1, s[2:3]
	v_cmp_le_u32_e64 s[2:3], s28, v10
	s_nop 1
	v_cndmask_b32_e64 v10, 0, -1, s[2:3]
	v_cmp_eq_u32_e64 s[2:3], s29, v5
	s_nop 1
	v_cndmask_b32_e64 v5, v11, v10, s[2:3]
	v_lshl_add_u64 v[10:11], v[8:9], 0, 2
	v_cmp_ne_u32_e64 s[2:3], 0, v5
	s_nop 1
	v_cndmask_b32_e64 v5, v13, v11, s[2:3]
	v_cndmask_b32_e64 v11, 0, -1, vcc
	v_cmp_le_u32_e32 vcc, s28, v14
	s_nop 1
	v_cndmask_b32_e64 v13, 0, -1, vcc
	v_cmp_eq_u32_e32 vcc, s29, v1
	s_nop 1
	v_cndmask_b32_e32 v1, v11, v13, vcc
	v_cmp_ne_u32_e32 vcc, 0, v1
	v_cndmask_b32_e64 v1, v12, v10, s[2:3]
	s_nop 0
	v_cndmask_b32_e32 v23, v9, v5, vcc
	v_cndmask_b32_e32 v22, v8, v1, vcc
.LBB0_4:                                ;   in Loop: Header=BB0_2 Depth=1
	s_andn2_saveexec_b64 s[2:3], s[30:31]
	s_cbranch_execz .LBB0_6
; %bb.5:                                ;   in Loop: Header=BB0_2 Depth=1
	v_cvt_f32_u32_e32 v1, s28
	s_sub_i32 s30, 0, s28
	v_mov_b32_e32 v23, v4
	v_rcp_iflag_f32_e32 v1, v1
	s_nop 0
	v_mul_f32_e32 v1, 0x4f7ffffe, v1
	v_cvt_u32_f32_e32 v1, v1
	v_mul_lo_u32 v5, s30, v1
	v_mul_hi_u32 v5, v1, v5
	v_add_u32_e32 v1, v1, v5
	v_mul_hi_u32 v1, v6, v1
	v_mul_lo_u32 v5, v1, s28
	v_sub_u32_e32 v5, v6, v5
	v_add_u32_e32 v8, 1, v1
	v_subrev_u32_e32 v9, s28, v5
	v_cmp_le_u32_e32 vcc, s28, v5
	s_nop 1
	v_cndmask_b32_e32 v5, v5, v9, vcc
	v_cndmask_b32_e32 v1, v1, v8, vcc
	v_add_u32_e32 v8, 1, v1
	v_cmp_le_u32_e32 vcc, s28, v5
	s_nop 1
	v_cndmask_b32_e32 v22, v1, v8, vcc
.LBB0_6:                                ;   in Loop: Header=BB0_2 Depth=1
	s_or_b64 exec, exec, s[2:3]
	v_mad_u64_u32 v[8:9], s[2:3], v22, s28, 0
	s_load_dwordx2 s[2:3], s[22:23], 0x0
	v_mul_lo_u32 v1, v23, s28
	v_mul_lo_u32 v5, v22, s29
	s_load_dwordx2 s[28:29], s[20:21], 0x0
	s_add_u32 s26, s26, 1
	v_add3_u32 v1, v9, v5, v1
	v_sub_co_u32_e32 v5, vcc, v6, v8
	s_addc_u32 s27, s27, 0
	s_nop 0
	v_subb_co_u32_e32 v1, vcc, v7, v1, vcc
	s_add_u32 s20, s20, 8
	s_waitcnt lgkmcnt(0)
	v_mul_lo_u32 v6, s2, v1
	v_mul_lo_u32 v7, s3, v5
	v_mad_u64_u32 v[2:3], s[2:3], s2, v5, v[2:3]
	s_addc_u32 s21, s21, 0
	v_add3_u32 v3, v7, v3, v6
	v_mul_lo_u32 v1, s28, v1
	v_mul_lo_u32 v6, s29, v5
	v_mad_u64_u32 v[20:21], s[2:3], s28, v5, v[20:21]
	s_add_u32 s22, s22, 8
	v_add3_u32 v21, v6, v21, v1
	s_addc_u32 s23, s23, 0
	v_mov_b64_e32 v[6:7], s[10:11]
	s_add_u32 s24, s24, 8
	v_cmp_ge_u64_e32 vcc, s[26:27], v[6:7]
	s_addc_u32 s25, s25, 0
	s_cbranch_vccnz .LBB0_9
; %bb.7:                                ;   in Loop: Header=BB0_2 Depth=1
	v_mov_b64_e32 v[6:7], v[22:23]
	s_branch .LBB0_2
.LBB0_8:
	v_mov_b64_e32 v[20:21], v[2:3]
	v_mov_b64_e32 v[22:23], v[6:7]
.LBB0_9:
	s_load_dwordx2 s[0:1], s[0:1], 0x28
	s_lshl_b64 s[20:21], s[10:11], 3
	s_add_u32 s10, s14, s20
	s_addc_u32 s11, s15, s21
                                        ; implicit-def: $sgpr14
                                        ; implicit-def: $vgpr28
                                        ; implicit-def: $vgpr29
                                        ; implicit-def: $vgpr30
                                        ; implicit-def: $vgpr31
	s_waitcnt lgkmcnt(0)
	v_cmp_gt_u64_e32 vcc, s[0:1], v[22:23]
	v_cmp_le_u64_e64 s[0:1], s[0:1], v[22:23]
	s_and_saveexec_b64 s[2:3], s[0:1]
	s_xor_b64 s[0:1], exec, s[2:3]
; %bb.10:
	s_mov_b32 s2, 0x253c826
	v_mul_hi_u32 v1, v0, s2
	v_mul_u32_u24_e32 v1, 0x6e, v1
	v_sub_u32_e32 v28, v0, v1
	v_add_u32_e32 v29, 0x6e, v28
	v_add_u32_e32 v30, 0xdc, v28
	v_add_u32_e32 v31, 0x14a, v28
	s_mov_b32 s14, 0
                                        ; implicit-def: $vgpr0
                                        ; implicit-def: $vgpr2_vgpr3
; %bb.11:
	s_or_saveexec_b64 s[2:3], s[0:1]
	s_load_dwordx2 s[10:11], s[10:11], 0x0
	v_mov_b32_e32 v4, s14
	v_mov_b32_e32 v5, s14
                                        ; implicit-def: $vgpr26
                                        ; implicit-def: $vgpr10
                                        ; implicit-def: $vgpr14
                                        ; implicit-def: $vgpr18
                                        ; implicit-def: $vgpr24
                                        ; implicit-def: $vgpr6
                                        ; implicit-def: $vgpr8
                                        ; implicit-def: $vgpr12
                                        ; implicit-def: $vgpr16
	s_xor_b64 exec, exec, s[2:3]
	s_cbranch_execz .LBB0_15
; %bb.12:
	s_add_u32 s0, s12, s20
	s_addc_u32 s1, s13, s21
	s_load_dwordx2 s[0:1], s[0:1], 0x0
	s_mov_b32 s12, 0x253c826
	s_waitcnt lgkmcnt(0)
	v_mul_lo_u32 v1, s1, v22
	v_mul_lo_u32 v6, s0, v23
	v_mad_u64_u32 v[4:5], s[0:1], s0, v22, 0
	v_add3_u32 v5, v5, v6, v1
	v_mul_hi_u32 v1, v0, s12
	v_mul_u32_u24_e32 v1, 0x6e, v1
	v_sub_u32_e32 v28, v0, v1
	v_mad_u64_u32 v[6:7], s[0:1], s18, v28, 0
	v_mov_b32_e32 v0, v7
	v_mad_u64_u32 v[0:1], s[0:1], s19, v28, v[0:1]
	v_mov_b32_e32 v7, v0
	v_lshl_add_u64 v[0:1], v[4:5], 3, s[4:5]
	v_lshl_add_u64 v[0:1], v[2:3], 3, v[0:1]
	;; [unrolled: 1-line block ×3, first 2 shown]
	v_add_u32_e32 v7, 0x1ef, v28
	v_mad_u64_u32 v[4:5], s[0:1], s18, v7, 0
	v_mov_b32_e32 v6, v5
	v_mad_u64_u32 v[6:7], s[0:1], s19, v7, v[6:7]
	v_add_u32_e32 v29, 0x6e, v28
	v_mov_b32_e32 v5, v6
	v_mad_u64_u32 v[6:7], s[0:1], s18, v29, 0
	v_mov_b32_e32 v8, v7
	v_mad_u64_u32 v[8:9], s[0:1], s19, v29, v[8:9]
	v_mov_b32_e32 v7, v8
	v_add_u32_e32 v9, 0x25d, v28
	v_lshl_add_u64 v[10:11], v[6:7], 3, v[0:1]
	v_mad_u64_u32 v[6:7], s[0:1], s18, v9, 0
	v_mov_b32_e32 v8, v7
	v_mad_u64_u32 v[8:9], s[0:1], s19, v9, v[8:9]
	v_mov_b32_e32 v7, v8
	v_add_u32_e32 v30, 0xdc, v28
	v_lshl_add_u64 v[4:5], v[4:5], 3, v[0:1]
	v_lshl_add_u64 v[14:15], v[6:7], 3, v[0:1]
	global_load_dwordx2 v[12:13], v[2:3], off
	global_load_dwordx2 v[16:17], v[4:5], off
	;; [unrolled: 1-line block ×4, first 2 shown]
	v_mad_u64_u32 v[2:3], s[0:1], s18, v30, 0
	v_mov_b32_e32 v4, v3
	v_mad_u64_u32 v[4:5], s[0:1], s19, v30, v[4:5]
	v_add_u32_e32 v11, 0x2cb, v28
	v_mov_b32_e32 v3, v4
	v_mad_u64_u32 v[4:5], s[0:1], s18, v11, 0
	v_mov_b32_e32 v10, v5
	v_mad_u64_u32 v[10:11], s[0:1], s19, v11, v[10:11]
	v_add_u32_e32 v31, 0x14a, v28
	v_mov_b32_e32 v5, v10
	v_mad_u64_u32 v[10:11], s[0:1], s18, v31, 0
	v_mov_b32_e32 v14, v11
	v_mad_u64_u32 v[14:15], s[0:1], s19, v31, v[14:15]
	v_mov_b32_e32 v11, v14
	v_add_u32_e32 v15, 0x339, v28
	v_lshl_add_u64 v[26:27], v[10:11], 3, v[0:1]
	v_mad_u64_u32 v[10:11], s[0:1], s18, v15, 0
	v_mov_b32_e32 v14, v11
	v_mad_u64_u32 v[14:15], s[0:1], s19, v15, v[14:15]
	v_lshl_add_u64 v[2:3], v[2:3], 3, v[0:1]
	v_mov_b32_e32 v11, v14
	v_lshl_add_u64 v[4:5], v[4:5], 3, v[0:1]
	v_lshl_add_u64 v[32:33], v[10:11], 3, v[0:1]
	global_load_dwordx2 v[18:19], v[2:3], off
	global_load_dwordx2 v[24:25], v[4:5], off
	;; [unrolled: 1-line block ×4, first 2 shown]
	v_cmp_gt_u32_e64 s[0:1], 55, v28
	v_mov_b32_e32 v5, 0
	v_mov_b32_e32 v4, 0
                                        ; implicit-def: $vgpr27
	s_and_saveexec_b64 s[4:5], s[0:1]
	s_cbranch_execz .LBB0_14
; %bb.13:
	v_add_u32_e32 v5, 0x1b8, v28
	v_mad_u64_u32 v[2:3], s[0:1], s18, v5, 0
	v_mov_b32_e32 v4, v3
	v_mad_u64_u32 v[4:5], s[0:1], s19, v5, v[4:5]
	v_add_u32_e32 v27, 0x3a7, v28
	v_mov_b32_e32 v3, v4
	v_mad_u64_u32 v[4:5], s[0:1], s18, v27, 0
	v_mov_b32_e32 v26, v5
	v_mad_u64_u32 v[26:27], s[0:1], s19, v27, v[26:27]
	v_lshl_add_u64 v[2:3], v[2:3], 3, v[0:1]
	v_mov_b32_e32 v5, v26
	v_lshl_add_u64 v[0:1], v[4:5], 3, v[0:1]
	global_load_dwordx2 v[4:5], v[2:3], off
	global_load_dwordx2 v[26:27], v[0:1], off
.LBB0_14:
	s_or_b64 exec, exec, s[4:5]
.LBB0_15:
	s_or_b64 exec, exec, s[2:3]
	s_waitcnt vmcnt(6)
	v_pk_add_f32 v[0:1], v[12:13], v[16:17] neg_lo:[0,1] neg_hi:[0,1]
	s_waitcnt vmcnt(0)
	v_pk_add_f32 v[2:3], v[4:5], v[26:27] neg_lo:[0,1] neg_hi:[0,1]
	v_lshl_add_u32 v27, v28, 4, 0
	v_pk_fma_f32 v[12:13], v[12:13], 2.0, v[0:1] op_sel_hi:[1,0,1] neg_lo:[0,0,1] neg_hi:[0,0,1]
	ds_write2_b64 v27, v[12:13], v[0:1] offset1:1
	v_pk_add_f32 v[0:1], v[6:7], v[8:9] neg_lo:[0,1] neg_hi:[0,1]
	v_lshl_add_u32 v26, v29, 4, 0
	v_pk_fma_f32 v[6:7], v[6:7], 2.0, v[0:1] op_sel_hi:[1,0,1] neg_lo:[0,0,1] neg_hi:[0,0,1]
	ds_write2_b64 v26, v[6:7], v[0:1] offset1:1
	;; [unrolled: 4-line block ×3, first 2 shown]
	v_pk_add_f32 v[6:7], v[10:11], v[14:15] neg_lo:[0,1] neg_hi:[0,1]
	v_lshl_add_u32 v1, v31, 4, 0
	v_pk_fma_f32 v[8:9], v[10:11], 2.0, v[6:7] op_sel_hi:[1,0,1] neg_lo:[0,0,1] neg_hi:[0,0,1]
	v_cmp_gt_u32_e64 s[0:1], 55, v28
	ds_write2_b64 v1, v[8:9], v[6:7] offset1:1
	s_and_saveexec_b64 s[2:3], s[0:1]
	s_cbranch_execz .LBB0_17
; %bb.16:
	v_add_u32_e32 v6, 0x1b80, v27
	v_pk_fma_f32 v[4:5], v[4:5], 2.0, v[2:3] op_sel_hi:[1,0,1] neg_lo:[0,0,1] neg_hi:[0,0,1]
	ds_write2_b64 v6, v[4:5], v[2:3] offset1:1
.LBB0_17:
	s_or_b64 exec, exec, s[2:3]
	v_and_b32_e32 v8, 1, v28
	v_lshlrev_b32_e32 v4, 4, v8
	s_waitcnt lgkmcnt(0)
	s_barrier
	global_load_dwordx4 v[4:7], v4, s[8:9]
	v_lshlrev_b32_e32 v56, 3, v28
	v_lshlrev_b32_e32 v9, 3, v31
	;; [unrolled: 1-line block ×3, first 2 shown]
	v_lshrrev_b32_e32 v11, 1, v28
	v_lshrrev_b32_e32 v12, 1, v29
	;; [unrolled: 1-line block ×3, first 2 shown]
	v_lshlrev_b32_e32 v31, 3, v29
	v_sub_u32_e32 v57, v27, v56
	v_sub_u32_e32 v48, v1, v9
	;; [unrolled: 1-line block ×3, first 2 shown]
	v_mul_u32_u24_e32 v0, 6, v11
	v_mul_lo_u32 v1, v12, 6
	v_mul_lo_u32 v9, v13, 6
	v_sub_u32_e32 v49, v26, v31
	v_add_u32_e32 v51, 0x1400, v57
	v_add_u32_e32 v58, 0xc00, v57
	v_or_b32_e32 v34, v0, v8
	v_or_b32_e32 v35, v1, v8
	;; [unrolled: 1-line block ×3, first 2 shown]
	ds_read_b64 v[0:1], v50
	ds_read_b64 v[16:17], v49
	;; [unrolled: 1-line block ×3, first 2 shown]
	ds_read_b64 v[24:25], v57 offset:7040
	ds_read_b64 v[32:33], v57
	ds_read2_b64 v[8:11], v51 offset0:20 offset1:130
	ds_read2_b64 v[12:15], v58 offset0:56 offset1:166
	v_lshl_add_u32 v52, v34, 3, 0
	v_lshl_add_u32 v53, v35, 3, 0
	;; [unrolled: 1-line block ×3, first 2 shown]
	s_mov_b32 s0, 0x3f5db3d7
	s_waitcnt lgkmcnt(0)
	s_barrier
	s_mov_b32 s2, 0xaaab
	s_waitcnt vmcnt(0)
	v_pk_mul_f32 v[34:35], v[4:5], v[14:15] op_sel:[0,1]
	v_pk_mul_f32 v[36:37], v[6:7], v[24:25] op_sel:[0,1]
	;; [unrolled: 1-line block ×6, first 2 shown]
	v_pk_fma_f32 v[46:47], v[4:5], v[14:15], v[34:35] op_sel:[0,0,1] op_sel_hi:[1,1,0]
	v_pk_fma_f32 v[14:15], v[4:5], v[14:15], v[34:35] op_sel:[0,0,1] op_sel_hi:[1,0,0] neg_lo:[1,0,0] neg_hi:[1,0,0]
	v_pk_fma_f32 v[34:35], v[6:7], v[24:25], v[36:37] op_sel:[0,0,1] op_sel_hi:[1,1,0]
	v_pk_fma_f32 v[24:25], v[6:7], v[24:25], v[36:37] op_sel:[0,0,1] op_sel_hi:[1,0,0] neg_lo:[1,0,0] neg_hi:[1,0,0]
	;; [unrolled: 2-line block ×6, first 2 shown]
	v_mov_b32_e32 v37, v13
	v_mov_b32_e32 v39, v11
	;; [unrolled: 1-line block ×6, first 2 shown]
	v_pk_add_f32 v[8:9], v[36:37], v[38:39]
	v_pk_add_f32 v[10:11], v[36:37], v[38:39] neg_lo:[0,1] neg_hi:[0,1]
	v_pk_add_f32 v[14:15], v[40:41], v[18:19]
	v_pk_add_f32 v[24:25], v[40:41], v[18:19] neg_lo:[0,1] neg_hi:[0,1]
	v_pk_add_f32 v[6:7], v[16:17], v[36:37]
	v_pk_add_f32 v[12:13], v[32:33], v[40:41]
	v_pk_fma_f32 v[8:9], v[8:9], 0.5, v[16:17] op_sel_hi:[1,0,1] neg_lo:[1,0,0] neg_hi:[1,0,0]
	v_pk_mul_f32 v[10:11], v[10:11], s[0:1] op_sel_hi:[1,0]
	v_pk_fma_f32 v[14:15], v[14:15], 0.5, v[32:33] op_sel_hi:[1,0,1] neg_lo:[1,0,0] neg_hi:[1,0,0]
	v_pk_mul_f32 v[16:17], v[24:25], s[0:1] op_sel_hi:[1,0]
	v_pk_add_f32 v[12:13], v[12:13], v[18:19]
	v_pk_add_f32 v[18:19], v[8:9], v[10:11] op_sel:[0,1] op_sel_hi:[1,0] neg_lo:[0,1] neg_hi:[0,1]
	v_pk_add_f32 v[8:9], v[8:9], v[10:11] op_sel:[0,1] op_sel_hi:[1,0]
	v_pk_add_f32 v[10:11], v[14:15], v[16:17] op_sel:[0,1] op_sel_hi:[1,0] neg_lo:[0,1] neg_hi:[0,1]
	v_pk_add_f32 v[14:15], v[14:15], v[16:17] op_sel:[0,1] op_sel_hi:[1,0]
	v_pk_add_f32 v[6:7], v[6:7], v[38:39]
	v_mov_b32_e32 v16, v10
	v_mov_b32_e32 v17, v15
	;; [unrolled: 1-line block ×6, first 2 shown]
	ds_write2_b64 v52, v[12:13], v[16:17] offset1:2
	ds_write_b64 v52, v[14:15] offset:32
	ds_write2_b64 v53, v[6:7], v[10:11] offset1:2
	ds_write_b64 v53, v[8:9] offset:32
	v_pk_add_f32 v[6:7], v[46:47], v[34:35]
	v_pk_add_f32 v[4:5], v[0:1], v[46:47]
	v_pk_fma_f32 v[0:1], v[6:7], 0.5, v[0:1] op_sel_hi:[1,0,1] neg_lo:[1,0,0] neg_hi:[1,0,0]
	v_pk_add_f32 v[6:7], v[46:47], v[34:35] neg_lo:[0,1] neg_hi:[0,1]
	v_pk_add_f32 v[4:5], v[4:5], v[34:35]
	v_pk_mul_f32 v[6:7], v[6:7], s[0:1] op_sel_hi:[1,0]
	s_movk_i32 s1, 0xab
	v_pk_add_f32 v[8:9], v[0:1], v[6:7] op_sel:[0,1] op_sel_hi:[1,0] neg_lo:[0,1] neg_hi:[0,1]
	v_pk_add_f32 v[0:1], v[0:1], v[6:7] op_sel:[0,1] op_sel_hi:[1,0]
	v_mov_b32_e32 v6, v8
	v_mov_b32_e32 v7, v1
	;; [unrolled: 1-line block ×3, first 2 shown]
	ds_write_b64 v54, v[0:1] offset:32
	v_mul_lo_u16_sdwa v1, v29, s1 dst_sel:DWORD dst_unused:UNUSED_PAD src0_sel:BYTE_0 src1_sel:DWORD
	v_lshrrev_b16_e32 v1, 10, v1
	ds_write2_b64 v54, v[4:5], v[6:7] offset1:2
	v_mul_lo_u16_e32 v4, 6, v1
	v_sub_u16_e32 v16, v29, v4
	v_mul_u32_u24_sdwa v4, v30, s2 dst_sel:DWORD dst_unused:UNUSED_PAD src0_sel:WORD_0 src1_sel:DWORD
	v_lshrrev_b32_e32 v17, 18, v4
	v_mul_lo_u16_e32 v4, 6, v17
	v_mov_b32_e32 v0, 4
	v_sub_u16_e32 v18, v30, v4
	v_lshlrev_b32_e32 v4, 4, v18
	v_lshlrev_b32_sdwa v8, v0, v16 dst_sel:DWORD dst_unused:UNUSED_PAD src0_sel:DWORD src1_sel:BYTE_0
	s_waitcnt lgkmcnt(0)
	s_barrier
	global_load_dwordx4 v[4:7], v4, s[8:9] offset:32
	v_mul_lo_u16_sdwa v12, v28, s1 dst_sel:DWORD dst_unused:UNUSED_PAD src0_sel:BYTE_0 src1_sel:DWORD
	global_load_dwordx4 v[8:11], v8, s[8:9] offset:32
	v_lshrrev_b16_e32 v19, 10, v12
	v_mul_lo_u16_e32 v12, 6, v19
	v_sub_u16_e32 v24, v28, v12
	v_lshlrev_b32_sdwa v0, v0, v24 dst_sel:DWORD dst_unused:UNUSED_PAD src0_sel:DWORD src1_sel:BYTE_0
	global_load_dwordx4 v[12:15], v0, s[8:9] offset:32
	v_mov_b32_e32 v30, 3
	v_mul_u32_u24_e32 v0, 0x90, v19
	v_mul_u32_u24_e32 v1, 0x90, v1
	v_mul_u32_u24_e32 v17, 0x90, v17
	v_lshlrev_b32_sdwa v19, v30, v24 dst_sel:DWORD dst_unused:UNUSED_PAD src0_sel:DWORD src1_sel:BYTE_0
	v_lshlrev_b32_sdwa v16, v30, v16 dst_sel:DWORD dst_unused:UNUSED_PAD src0_sel:DWORD src1_sel:BYTE_0
	v_lshlrev_b32_e32 v18, 3, v18
	v_add3_u32 v43, 0, v0, v19
	v_add3_u32 v59, 0, v1, v16
	;; [unrolled: 1-line block ×3, first 2 shown]
	ds_read_b64 v[0:1], v49
	ds_read_b64 v[24:25], v48
	ds_read_b64 v[36:37], v57 offset:7040
	ds_read2_b64 v[16:19], v58 offset0:56 offset1:166
	ds_read2_b64 v[32:35], v51 offset0:20 offset1:130
	ds_read_b64 v[38:39], v50
	ds_read_b64 v[40:41], v57
	s_waitcnt lgkmcnt(4)
	v_mov_b32_e32 v42, v37
	s_waitcnt lgkmcnt(3)
	v_mov_b32_e32 v44, v17
	;; [unrolled: 2-line block ×3, first 2 shown]
	s_waitcnt lgkmcnt(0)
	s_barrier
	s_waitcnt vmcnt(2)
	v_pk_mul_f32 v[48:49], v[36:37], v[6:7]
	s_nop 0
	v_mov_b32_e32 v48, v7
	s_waitcnt vmcnt(1)
	v_pk_mul_f32 v[50:51], v[8:9], v[16:17] op_sel_hi:[1,0]
	v_mov_b32_e32 v52, v11
	v_mov_b32_e32 v53, v10
	v_pk_mul_f32 v[10:11], v[10:11], v[34:35] op_sel_hi:[1,0]
	v_pk_mul_f32 v[54:55], v[4:5], v[18:19] op_sel:[0,1]
	v_pk_fma_f32 v[44:45], v[8:9], v[44:45], v[50:51] op_sel:[1,0,0] op_sel_hi:[0,1,1]
	v_pk_fma_f32 v[8:9], v[8:9], v[16:17], v[50:51] op_sel:[1,1,0] op_sel_hi:[0,1,1] neg_lo:[0,0,1] neg_hi:[0,0,1]
	v_pk_fma_f32 v[46:47], v[52:53], v[46:47], v[10:11]
	v_pk_fma_f32 v[10:11], v[52:53], v[34:35], v[10:11] op_sel:[0,1,0] neg_lo:[0,0,1] neg_hi:[0,0,1]
	v_mov_b32_e32 v8, v49
	v_pk_mul_f32 v[16:17], v[36:37], v[48:49]
	v_pk_fma_f32 v[34:35], v[4:5], v[18:19], v[54:55] op_sel:[0,0,1] op_sel_hi:[1,1,0]
	v_pk_fma_f32 v[4:5], v[4:5], v[18:19], v[54:55] op_sel:[0,0,1] op_sel_hi:[1,0,0] neg_lo:[1,0,0] neg_hi:[1,0,0]
	v_mov_b32_e32 v45, v9
	v_mov_b32_e32 v47, v11
	v_pk_fma_f32 v[18:19], v[36:37], v[6:7], v[8:9]
	v_pk_fma_f32 v[6:7], v[42:43], v[6:7], v[16:17] neg_lo:[0,0,1] neg_hi:[0,0,1]
	v_mov_b32_e32 v35, v5
	v_pk_add_f32 v[4:5], v[44:45], v[46:47]
	v_pk_add_f32 v[8:9], v[44:45], v[46:47] neg_lo:[0,1] neg_hi:[0,1]
	v_pk_add_f32 v[10:11], v[38:39], v[34:35]
	v_mov_b32_e32 v19, v6
	v_pk_fma_f32 v[4:5], v[4:5], 0.5, v[0:1] op_sel_hi:[1,0,1] neg_lo:[1,0,0] neg_hi:[1,0,0]
	v_pk_mul_f32 v[6:7], v[8:9], s[0:1] op_sel_hi:[1,0]
	v_pk_add_f32 v[8:9], v[10:11], v[18:19]
	v_pk_add_f32 v[16:17], v[4:5], v[6:7] op_sel:[0,1] op_sel_hi:[1,0]
	v_pk_add_f32 v[10:11], v[4:5], v[6:7] op_sel:[0,1] op_sel_hi:[1,0] neg_lo:[0,1] neg_hi:[0,1]
	s_waitcnt vmcnt(0)
	v_pk_mul_f32 v[4:5], v[12:13], v[24:25] op_sel:[0,1]
	v_pk_add_f32 v[0:1], v[0:1], v[44:45]
	v_pk_fma_f32 v[6:7], v[12:13], v[24:25], v[4:5] op_sel:[0,0,1] op_sel_hi:[1,1,0]
	v_pk_fma_f32 v[4:5], v[12:13], v[24:25], v[4:5] op_sel:[0,0,1] op_sel_hi:[1,0,0] neg_lo:[1,0,0] neg_hi:[1,0,0]
	v_pk_add_f32 v[0:1], v[0:1], v[46:47]
	v_mov_b32_e32 v7, v5
	v_pk_mul_f32 v[4:5], v[14:15], v[32:33] op_sel:[0,1]
	s_nop 0
	v_pk_fma_f32 v[12:13], v[14:15], v[32:33], v[4:5] op_sel:[0,0,1] op_sel_hi:[1,1,0]
	v_pk_fma_f32 v[4:5], v[14:15], v[32:33], v[4:5] op_sel:[0,0,1] op_sel_hi:[1,0,0] neg_lo:[1,0,0] neg_hi:[1,0,0]
	s_nop 0
	v_mov_b32_e32 v13, v5
	v_pk_add_f32 v[4:5], v[40:41], v[6:7]
	v_pk_add_f32 v[14:15], v[6:7], v[12:13]
	v_pk_add_f32 v[6:7], v[6:7], v[12:13] neg_lo:[0,1] neg_hi:[0,1]
	v_pk_fma_f32 v[14:15], v[14:15], 0.5, v[40:41] op_sel_hi:[1,0,1] neg_lo:[1,0,0] neg_hi:[1,0,0]
	v_pk_mul_f32 v[6:7], v[6:7], s[0:1] op_sel_hi:[1,0]
	v_pk_add_f32 v[4:5], v[4:5], v[12:13]
	v_pk_add_f32 v[12:13], v[14:15], v[6:7] op_sel:[0,1] op_sel_hi:[1,0] neg_lo:[0,1] neg_hi:[0,1]
	v_pk_add_f32 v[6:7], v[14:15], v[6:7] op_sel:[0,1] op_sel_hi:[1,0]
	v_mov_b32_e32 v14, v12
	v_mov_b32_e32 v15, v7
	ds_write2_b64 v43, v[4:5], v[14:15] offset1:6
	v_mov_b32_e32 v7, v13
	v_mov_b32_e32 v4, v10
	;; [unrolled: 1-line block ×3, first 2 shown]
	ds_write_b64 v43, v[6:7] offset:96
	ds_write2_b64 v59, v[0:1], v[4:5] offset1:6
	v_pk_add_f32 v[0:1], v[34:35], v[18:19]
	v_mov_b32_e32 v17, v11
	v_pk_fma_f32 v[4:5], v[0:1], 0.5, v[38:39] op_sel_hi:[1,0,1] neg_lo:[1,0,0] neg_hi:[1,0,0]
	v_pk_add_f32 v[0:1], v[34:35], v[18:19] neg_lo:[0,1] neg_hi:[0,1]
	ds_write_b64 v59, v[16:17] offset:96
	v_pk_mul_f32 v[6:7], v[0:1], s[0:1] op_sel_hi:[1,0]
	v_sub_u32_e32 v10, 0, v56
	v_pk_add_f32 v[0:1], v[4:5], v[6:7] op_sel:[0,1] op_sel_hi:[1,0] neg_lo:[0,1] neg_hi:[0,1]
	v_pk_add_f32 v[18:19], v[4:5], v[6:7] op_sel:[0,1] op_sel_hi:[1,0]
	v_mov_b32_e32 v4, v0
	v_mov_b32_e32 v5, v19
	ds_write2_b64 v60, v[8:9], v[4:5] offset1:6
	v_mov_b32_e32 v4, v18
	v_mov_b32_e32 v5, v1
	ds_write_b64 v60, v[4:5] offset:96
	s_waitcnt lgkmcnt(0)
	s_barrier
	ds_read2_b64 v[4:7], v57 offset1:198
	ds_read2_b64 v[12:15], v58 offset0:12 offset1:210
	ds_read_b64 v[24:25], v57 offset:6336
	s_movk_i32 s0, 0x58
	v_cmp_gt_u32_e64 s[0:1], s0, v28
	v_add_u32_e32 v27, v27, v10
	s_and_saveexec_b64 s[2:3], s[0:1]
	s_cbranch_execz .LBB0_19
; %bb.18:
	v_sub_u32_e32 v16, 0, v31
	v_add_u32_e32 v8, 0x800, v27
	v_add_u32_e32 v0, 0x1600, v27
	;; [unrolled: 1-line block ×3, first 2 shown]
	ds_read2_b64 v[0:3], v0 offset1:198
	ds_read2_b64 v[8:11], v8 offset0:52 offset1:250
	ds_read_b64 v[16:17], v16
	s_waitcnt lgkmcnt(2)
	v_mov_b32_e32 v18, v0
	s_waitcnt lgkmcnt(1)
	v_mov_b32_e32 v19, v11
	v_mov_b32_e32 v0, v10
	s_waitcnt lgkmcnt(0)
	v_mov_b32_e32 v11, v17
.LBB0_19:
	s_or_b64 exec, exec, s[2:3]
	v_mov_b32_e32 v10, 57
	v_mul_lo_u16_sdwa v17, v28, v10 dst_sel:DWORD dst_unused:UNUSED_PAD src0_sel:BYTE_0 src1_sel:DWORD
	v_lshrrev_b16_e32 v31, 10, v17
	v_mul_lo_u16_e32 v17, 18, v31
	v_sub_u16_e32 v66, v28, v17
	v_mov_b32_e32 v17, 5
	v_lshlrev_b32_sdwa v26, v17, v66 dst_sel:DWORD dst_unused:UNUSED_PAD src0_sel:DWORD src1_sel:BYTE_0
	v_mul_lo_u16_sdwa v10, v29, v10 dst_sel:DWORD dst_unused:UNUSED_PAD src0_sel:BYTE_0 src1_sel:DWORD
	global_load_dwordx4 v[32:35], v26, s[8:9] offset:128
	global_load_dwordx4 v[36:39], v26, s[8:9] offset:144
	v_lshrrev_b16_e32 v26, 10, v10
	v_mul_lo_u16_e32 v10, 18, v26
	v_sub_u16_e32 v29, v29, v10
	v_lshlrev_b32_sdwa v10, v17, v29 dst_sel:DWORD dst_unused:UNUSED_PAD src0_sel:DWORD src1_sel:BYTE_0
	global_load_dwordx4 v[40:43], v10, s[8:9] offset:128
	global_load_dwordx4 v[44:47], v10, s[8:9] offset:144
	v_mov_b32_e32 v48, v9
	v_mov_b32_e32 v50, v19
	;; [unrolled: 1-line block ×3, first 2 shown]
	s_waitcnt lgkmcnt(1)
	v_mov_b32_e32 v10, v13
	v_mov_b32_e32 v17, v11
	s_mov_b32 s4, 0x3f737871
	s_mov_b32 s12, 0x3f167918
	;; [unrolled: 1-line block ×3, first 2 shown]
	s_waitcnt lgkmcnt(0)
	s_barrier
	s_waitcnt vmcnt(3)
	v_mov_b32_e32 v54, v35
	v_mov_b32_e32 v55, v34
	s_waitcnt vmcnt(2)
	v_pk_mul_f32 v[56:57], v[36:37], v[14:15] op_sel:[0,1]
	v_pk_mul_f32 v[58:59], v[38:39], v[24:25] op_sel:[0,1]
	v_pk_mul_f32 v[34:35], v[34:35], v[12:13] op_sel_hi:[1,0]
	v_pk_mul_f32 v[60:61], v[32:33], v[6:7] op_sel:[0,1]
	s_waitcnt vmcnt(1)
	v_pk_mul_f32 v[48:49], v[48:49], v[40:41] op_sel_hi:[0,1]
	v_pk_mul_f32 v[50:51], v[50:51], v[42:43] op_sel_hi:[0,1]
	s_waitcnt vmcnt(0)
	v_pk_mul_f32 v[52:53], v[52:53], v[44:45] op_sel_hi:[0,1]
	v_pk_mul_f32 v[62:63], v[2:3], v[46:47] op_sel:[1,0]
	v_pk_fma_f32 v[64:65], v[38:39], v[24:25], v[58:59] op_sel:[0,0,1] op_sel_hi:[1,1,0]
	v_pk_fma_f32 v[24:25], v[38:39], v[24:25], v[58:59] op_sel:[0,0,1] op_sel_hi:[1,0,0] neg_lo:[1,0,0] neg_hi:[1,0,0]
	v_pk_fma_f32 v[38:39], v[36:37], v[14:15], v[56:57] op_sel:[0,0,1] op_sel_hi:[1,1,0]
	v_pk_fma_f32 v[14:15], v[36:37], v[14:15], v[56:57] op_sel:[0,0,1] op_sel_hi:[1,0,0] neg_lo:[1,0,0] neg_hi:[1,0,0]
	v_pk_fma_f32 v[12:13], v[54:55], v[12:13], v[34:35] op_sel:[0,1,0] neg_lo:[0,0,1] neg_hi:[0,0,1]
	v_pk_fma_f32 v[34:35], v[54:55], v[10:11], v[34:35]
	v_pk_fma_f32 v[10:11], v[32:33], v[6:7], v[60:61] op_sel:[0,0,1] op_sel_hi:[1,0,0] neg_lo:[1,0,0] neg_hi:[1,0,0]
	v_pk_fma_f32 v[32:33], v[32:33], v[6:7], v[60:61] op_sel:[0,0,1] op_sel_hi:[1,0,0]
	v_pk_fma_f32 v[36:37], v[8:9], v[40:41], v[48:49] op_sel:[0,0,1] op_sel_hi:[1,1,0]
	v_pk_fma_f32 v[6:7], v[8:9], v[40:41], v[48:49] op_sel:[0,0,1] op_sel_hi:[0,1,0] neg_lo:[1,0,0] neg_hi:[1,0,0]
	v_pk_fma_f32 v[40:41], v[0:1], v[42:43], v[50:51] op_sel:[0,0,1] op_sel_hi:[1,1,0]
	v_pk_fma_f32 v[0:1], v[0:1], v[42:43], v[50:51] op_sel:[0,0,1] op_sel_hi:[0,1,0] neg_lo:[1,0,0] neg_hi:[1,0,0]
	;; [unrolled: 2-line block ×4, first 2 shown]
	v_mov_b32_e32 v35, v13
	v_mov_b32_e32 v39, v15
	;; [unrolled: 1-line block ×8, first 2 shown]
	v_pk_add_f32 v[0:1], v[34:35], v[38:39]
	v_pk_add_f32 v[24:25], v[32:33], v[64:65] neg_lo:[0,1] neg_hi:[0,1]
	v_pk_add_f32 v[2:3], v[32:33], v[34:35] neg_lo:[0,1] neg_hi:[0,1]
	;; [unrolled: 1-line block ×3, first 2 shown]
	v_pk_add_f32 v[8:9], v[4:5], v[32:33]
	v_pk_add_f32 v[10:11], v[16:17], v[36:37]
	;; [unrolled: 1-line block ×3, first 2 shown]
	v_pk_add_f32 v[46:47], v[36:37], v[18:19] neg_lo:[0,1] neg_hi:[0,1]
	v_pk_add_f32 v[44:45], v[34:35], v[38:39] neg_lo:[0,1] neg_hi:[0,1]
	v_pk_add_f32 v[48:49], v[40:41], v[42:43] neg_lo:[0,1] neg_hi:[0,1]
	v_pk_fma_f32 v[0:1], v[0:1], 0.5, v[4:5] op_sel_hi:[1,0,1] neg_lo:[1,0,0] neg_hi:[1,0,0]
	v_pk_mul_f32 v[50:51], v[24:25], s[4:5] op_sel_hi:[1,0]
	v_pk_add_f32 v[54:55], v[2:3], v[6:7]
	v_pk_add_f32 v[2:3], v[8:9], v[34:35]
	;; [unrolled: 1-line block ×3, first 2 shown]
	v_pk_fma_f32 v[8:9], v[12:13], 0.5, v[16:17] op_sel_hi:[1,0,1] neg_lo:[1,0,0] neg_hi:[1,0,0]
	v_pk_mul_f32 v[10:11], v[46:47], s[4:5] op_sel_hi:[1,0]
	v_pk_mul_f32 v[52:53], v[44:45], s[12:13] op_sel_hi:[1,0]
	;; [unrolled: 1-line block ×3, first 2 shown]
	v_pk_add_f32 v[56:57], v[0:1], v[50:51] op_sel:[0,1] op_sel_hi:[1,0]
	v_pk_add_f32 v[50:51], v[0:1], v[50:51] op_sel:[0,1] op_sel_hi:[1,0] neg_lo:[0,1] neg_hi:[0,1]
	v_pk_add_f32 v[58:59], v[8:9], v[10:11] op_sel:[0,1] op_sel_hi:[1,0] neg_lo:[0,1] neg_hi:[0,1]
	v_pk_add_f32 v[8:9], v[8:9], v[10:11] op_sel:[0,1] op_sel_hi:[1,0]
	v_pk_add_f32 v[14:15], v[36:37], v[40:41] neg_lo:[0,1] neg_hi:[0,1]
	v_pk_add_f32 v[56:57], v[56:57], v[52:53] op_sel:[0,1] op_sel_hi:[1,0]
	v_pk_add_f32 v[50:51], v[50:51], v[52:53] op_sel:[0,1] op_sel_hi:[1,0] neg_lo:[0,1] neg_hi:[0,1]
	v_pk_add_f32 v[10:11], v[8:9], v[12:13] op_sel:[0,1] op_sel_hi:[1,0]
	v_pk_add_f32 v[12:13], v[58:59], v[12:13] op_sel:[0,1] op_sel_hi:[1,0] neg_lo:[0,1] neg_hi:[0,1]
	v_pk_add_f32 v[52:53], v[18:19], v[42:43] neg_lo:[0,1] neg_hi:[0,1]
	v_mov_b32_e32 v8, v12
	v_mov_b32_e32 v9, v11
	v_pk_add_f32 v[14:15], v[14:15], v[52:53]
	v_mov_b32_e32 v11, v13
	v_pk_fma_f32 v[8:9], v[14:15], s[2:3], v[8:9] op_sel_hi:[1,0,1]
	v_pk_fma_f32 v[14:15], v[14:15], s[2:3], v[10:11] op_sel_hi:[1,0,1]
	v_pk_add_f32 v[10:11], v[36:37], v[18:19]
	v_pk_mul_f32 v[12:13], v[48:49], s[4:5] op_sel_hi:[1,0]
	v_pk_fma_f32 v[10:11], v[10:11], 0.5, v[16:17] op_sel_hi:[1,0,1] neg_lo:[1,0,0] neg_hi:[1,0,0]
	v_pk_add_f32 v[6:7], v[6:7], v[42:43]
	v_pk_add_f32 v[16:17], v[10:11], v[12:13] op_sel:[0,1] op_sel_hi:[1,0]
	v_pk_add_f32 v[10:11], v[10:11], v[12:13] op_sel:[0,1] op_sel_hi:[1,0] neg_lo:[0,1] neg_hi:[0,1]
	v_pk_mul_f32 v[12:13], v[46:47], s[12:13] op_sel_hi:[1,0]
	v_pk_add_f32 v[6:7], v[6:7], v[18:19]
	v_pk_add_f32 v[46:47], v[10:11], v[12:13] op_sel:[0,1] op_sel_hi:[1,0]
	v_pk_add_f32 v[12:13], v[16:17], v[12:13] op_sel:[0,1] op_sel_hi:[1,0] neg_lo:[0,1] neg_hi:[0,1]
	v_pk_add_f32 v[16:17], v[40:41], v[36:37] neg_lo:[0,1] neg_hi:[0,1]
	v_pk_add_f32 v[18:19], v[42:43], v[18:19] neg_lo:[0,1] neg_hi:[0,1]
	v_mov_b32_e32 v10, v12
	v_mov_b32_e32 v11, v47
	v_pk_add_f32 v[16:17], v[16:17], v[18:19]
	v_mov_b32_e32 v47, v13
	v_pk_fma_f32 v[10:11], v[16:17], s[2:3], v[10:11] op_sel_hi:[1,0,1]
	v_pk_fma_f32 v[12:13], v[16:17], s[2:3], v[46:47] op_sel_hi:[1,0,1]
	v_mul_u32_u24_e32 v16, 0x2d0, v31
	v_lshlrev_b32_sdwa v17, v30, v66 dst_sel:DWORD dst_unused:UNUSED_PAD src0_sel:DWORD src1_sel:BYTE_0
	v_add3_u32 v36, 0, v16, v17
	v_pk_add_f32 v[16:17], v[32:33], v[64:65]
	v_pk_mul_f32 v[18:19], v[24:25], s[12:13] op_sel_hi:[1,0]
	v_pk_fma_f32 v[4:5], v[16:17], 0.5, v[4:5] op_sel_hi:[1,0,1] neg_lo:[1,0,0] neg_hi:[1,0,0]
	v_pk_mul_f32 v[16:17], v[44:45], s[4:5] op_sel_hi:[1,0]
	v_pk_add_f32 v[24:25], v[34:35], v[32:33] neg_lo:[0,1] neg_hi:[0,1]
	v_pk_add_f32 v[30:31], v[38:39], v[64:65] neg_lo:[0,1] neg_hi:[0,1]
	v_pk_add_f32 v[2:3], v[2:3], v[38:39]
	v_pk_add_f32 v[24:25], v[24:25], v[30:31]
	v_pk_add_f32 v[30:31], v[4:5], v[16:17] op_sel:[0,1] op_sel_hi:[1,0]
	v_pk_add_f32 v[4:5], v[4:5], v[16:17] op_sel:[0,1] op_sel_hi:[1,0] neg_lo:[0,1] neg_hi:[0,1]
	v_pk_add_f32 v[0:1], v[2:3], v[64:65]
	v_pk_add_f32 v[4:5], v[4:5], v[18:19] op_sel:[0,1] op_sel_hi:[1,0]
	v_pk_add_f32 v[18:19], v[30:31], v[18:19] op_sel:[0,1] op_sel_hi:[1,0] neg_lo:[0,1] neg_hi:[0,1]
	v_mov_b32_e32 v2, v50
	v_mov_b32_e32 v3, v57
	;; [unrolled: 1-line block ×6, first 2 shown]
	v_pk_fma_f32 v[2:3], v[54:55], s[2:3], v[2:3] op_sel_hi:[1,0,1]
	v_pk_fma_f32 v[16:17], v[24:25], s[2:3], v[16:17] op_sel_hi:[1,0,1]
	;; [unrolled: 1-line block ×4, first 2 shown]
	ds_write2_b64 v36, v[0:1], v[2:3] offset1:18
	ds_write2_b64 v36, v[16:17], v[18:19] offset0:36 offset1:54
	ds_write_b64 v36, v[4:5] offset:576
	s_and_saveexec_b64 s[2:3], s[0:1]
	s_cbranch_execz .LBB0_21
; %bb.20:
	v_mov_b32_e32 v25, 3
	v_mul_u32_u24_e32 v24, 0x2d0, v26
	v_lshlrev_b32_sdwa v25, v25, v29 dst_sel:DWORD dst_unused:UNUSED_PAD src0_sel:DWORD src1_sel:BYTE_0
	v_add3_u32 v24, 0, v24, v25
	ds_write2_b64 v24, v[6:7], v[8:9] offset1:18
	ds_write2_b64 v24, v[10:11], v[12:13] offset0:36 offset1:54
	ds_write_b64 v24, v[14:15] offset:576
.LBB0_21:
	s_or_b64 exec, exec, s[2:3]
	s_movk_i32 s4, 0x5a
	v_cmp_gt_u32_e64 s[0:1], s4, v28
	s_waitcnt lgkmcnt(0)
	s_barrier
	s_waitcnt lgkmcnt(0)
                                        ; implicit-def: $vgpr25
	s_and_saveexec_b64 s[2:3], s[0:1]
	s_cbranch_execz .LBB0_23
; %bb.22:
	v_add_u32_e32 v4, 0x400, v27
	ds_read2_b64 v[16:19], v4 offset0:52 offset1:142
	v_add_u32_e32 v4, 0x800, v27
	v_add_u32_e32 v8, 0x1000, v27
	;; [unrolled: 1-line block ×3, first 2 shown]
	ds_read2_b64 v[0:3], v27 offset1:90
	ds_read2_b64 v[4:7], v4 offset0:104 offset1:194
	ds_read2_b64 v[8:11], v8 offset0:28 offset1:118
	;; [unrolled: 1-line block ×3, first 2 shown]
	ds_read_b64 v[24:25], v27 offset:7200
.LBB0_23:
	s_or_b64 exec, exec, s[2:3]
	v_cmp_gt_u32_e64 s[2:3], s4, v28
	s_and_b64 s[2:3], vcc, s[2:3]
	s_and_saveexec_b64 s[4:5], s[2:3]
	s_cbranch_execz .LBB0_25
; %bb.24:
	v_add_u32_e32 v26, 0xffffffa6, v28
	v_cndmask_b32_e64 v26, v26, v28, s[0:1]
	v_mul_i32_i24_e32 v26, 10, v26
	v_mov_b32_e32 v27, 0
	v_lshl_add_u64 v[26:27], v[26:27], 3, s[8:9]
	global_load_dwordx4 v[30:33], v[26:27], off offset:768
	global_load_dwordx4 v[34:37], v[26:27], off offset:752
	;; [unrolled: 1-line block ×5, first 2 shown]
	v_mul_lo_u32 v27, s11, v22
	v_mul_lo_u32 v29, s10, v23
	v_mad_u64_u32 v[22:23], s[0:1], s10, v22, 0
	v_mad_u64_u32 v[50:51], s[0:1], s16, v28, 0
	v_add3_u32 v23, v23, v29, v27
	v_mov_b32_e32 v70, v51
	v_mad_u64_u32 v[70:71], s[0:1], s17, v28, v[70:71]
	v_lshl_add_u64 v[22:23], v[22:23], 3, s[6:7]
	s_waitcnt lgkmcnt(1)
	v_mov_b32_e32 v52, v15
	v_mov_b32_e32 v54, v13
	;; [unrolled: 1-line block ×6, first 2 shown]
	s_waitcnt lgkmcnt(0)
	v_mov_b32_e32 v64, v25
	v_mov_b32_e32 v68, v19
	;; [unrolled: 1-line block ×3, first 2 shown]
	v_lshl_add_u64 v[20:21], v[20:21], 3, v[22:23]
	v_mov_b32_e32 v26, v3
	v_lshl_add_u64 v[22:23], v[50:51], 3, v[20:21]
	v_mov_b32_e32 v66, v17
	s_mov_b32 s10, 0x3f575c64
	s_mov_b32 s11, 0xbf0a6770
	;; [unrolled: 1-line block ×22, first 2 shown]
	s_waitcnt vmcnt(4)
	v_pk_mul_f32 v[50:51], v[52:53], v[30:31] op_sel_hi:[0,1]
	s_waitcnt vmcnt(3)
	v_pk_mul_f32 v[52:53], v[54:55], v[36:37] op_sel_hi:[0,1]
	v_pk_mul_f32 v[54:55], v[56:57], v[34:35] op_sel_hi:[0,1]
	s_waitcnt vmcnt(2)
	v_pk_mul_f32 v[56:57], v[58:59], v[40:41] op_sel_hi:[0,1]
	v_pk_mul_f32 v[58:59], v[60:61], v[38:39] op_sel_hi:[0,1]
	s_waitcnt vmcnt(1)
	v_pk_mul_f32 v[60:61], v[62:63], v[44:45] op_sel_hi:[0,1]
	v_pk_mul_f32 v[62:63], v[64:65], v[32:33] op_sel_hi:[0,1]
	v_pk_mul_f32 v[64:65], v[68:69], v[42:43] op_sel_hi:[0,1]
	s_waitcnt vmcnt(0)
	v_pk_mul_f32 v[68:69], v[2:3], v[46:47] op_sel:[0,1] op_sel_hi:[1,0]
	v_pk_mul_f32 v[26:27], v[26:27], v[46:47] op_sel:[0,1] op_sel_hi:[1,0]
	v_mov_b32_e32 v70, v49
	v_mov_b32_e32 v71, v48
	v_pk_fma_f32 v[74:75], v[12:13], v[36:37], v[52:53] op_sel:[0,0,1] op_sel_hi:[0,1,0]
	v_pk_fma_f32 v[36:37], v[12:13], v[36:37], v[52:53] op_sel:[0,0,1] op_sel_hi:[0,1,0] neg_lo:[1,0,0] neg_hi:[1,0,0]
	v_pk_mul_f32 v[12:13], v[16:17], v[48:49] op_sel_hi:[0,1]
	v_pk_fma_f32 v[48:49], v[10:11], v[34:35], v[54:55] op_sel:[0,0,1] op_sel_hi:[0,1,0]
	v_pk_fma_f32 v[52:53], v[10:11], v[34:35], v[54:55] op_sel:[0,0,1] op_sel_hi:[0,1,0] neg_lo:[1,0,0] neg_hi:[1,0,0]
	v_pk_fma_f32 v[54:55], v[8:9], v[40:41], v[56:57] op_sel:[0,0,1] op_sel_hi:[0,1,0]
	v_pk_fma_f32 v[56:57], v[8:9], v[40:41], v[56:57] op_sel:[0,0,1] op_sel_hi:[0,1,0] neg_lo:[1,0,0] neg_hi:[1,0,0]
	;; [unrolled: 2-line block ×3, first 2 shown]
	v_mov_b32_e32 v4, v69
	v_pk_fma_f32 v[72:73], v[14:15], v[30:31], v[50:51] op_sel:[0,0,1] op_sel_hi:[0,1,0]
	v_pk_fma_f32 v[50:51], v[14:15], v[30:31], v[50:51] op_sel:[0,0,1] op_sel_hi:[0,1,0] neg_lo:[1,0,0] neg_hi:[1,0,0]
	v_pk_fma_f32 v[30:31], v[2:3], v[46:47], v[26:27]
	v_pk_fma_f32 v[34:35], v[2:3], v[46:47], v[4:5] op_sel:[0,1,0] op_sel_hi:[1,0,1] neg_lo:[1,0,0] neg_hi:[1,0,0]
	v_pk_fma_f32 v[76:77], v[6:7], v[38:39], v[58:59] op_sel:[0,0,1] op_sel_hi:[0,1,0]
	v_pk_fma_f32 v[58:59], v[6:7], v[38:39], v[58:59] op_sel:[0,0,1] op_sel_hi:[0,1,0] neg_lo:[1,0,0] neg_hi:[1,0,0]
	v_pk_fma_f32 v[38:39], v[18:19], v[42:43], v[64:65] op_sel:[0,0,1] op_sel_hi:[0,1,0]
	;; [unrolled: 2-line block ×3, first 2 shown]
	v_pk_fma_f32 v[16:17], v[24:25], v[32:33], v[62:63] op_sel:[0,0,1] op_sel_hi:[0,1,0] neg_lo:[1,0,0] neg_hi:[1,0,0]
	v_pk_fma_f32 v[32:33], v[66:67], v[70:71], v[12:13] op_sel_hi:[0,1,1]
	v_pk_fma_f32 v[42:43], v[66:67], v[70:71], v[12:13] op_sel_hi:[0,1,1] neg_lo:[0,0,1] neg_hi:[0,0,1]
	v_mov_b32_e32 v10, v30
	v_mov_b32_e32 v11, v34
	v_mov_b32_e32 v6, v32
	v_mov_b32_e32 v7, v43
	v_pk_add_f32 v[10:11], v[0:1], v[10:11]
	v_mov_b32_e32 v12, v38
	v_mov_b32_e32 v13, v19
	v_pk_add_f32 v[6:7], v[10:11], v[6:7]
	v_mov_b32_e32 v24, v40
	v_mov_b32_e32 v25, v45
	;; [unrolled: 3-line block ×8, first 2 shown]
	v_pk_add_f32 v[4:5], v[4:5], v[6:7]
	v_add_u32_e32 v7, 0xb4, v28
	v_pk_add_f32 v[2:3], v[2:3], v[4:5]
	v_add_u32_e32 v5, 0x5a, v28
	global_store_dwordx2 v[22:23], v[2:3], off
	v_mad_u64_u32 v[2:3], s[0:1], s16, v5, 0
	v_mov_b32_e32 v4, v3
	v_mad_u64_u32 v[4:5], s[0:1], s17, v5, v[4:5]
	v_mov_b32_e32 v3, v4
	;; [unrolled: 2-line block ×3, first 2 shown]
	v_mad_u64_u32 v[6:7], s[0:1], s17, v7, v[6:7]
	v_add_u32_e32 v9, 0x10e, v28
	v_mov_b32_e32 v5, v6
	v_mad_u64_u32 v[6:7], s[0:1], s16, v9, 0
	v_mov_b32_e32 v8, v7
	v_mad_u64_u32 v[8:9], s[0:1], s17, v9, v[8:9]
	v_add_u32_e32 v11, 0x168, v28
	v_mov_b32_e32 v7, v8
	v_mad_u64_u32 v[8:9], s[0:1], s16, v11, 0
	v_mov_b32_e32 v10, v9
	;; [unrolled: 5-line block ×5, first 2 shown]
	v_mad_u64_u32 v[24:25], s[0:1], s17, v25, v[24:25]
	v_add_u32_e32 v25, 0x2d0, v28
	v_mad_u64_u32 v[26:27], s[0:1], s16, v25, 0
	v_mov_b32_e32 v23, v24
	v_mov_b32_e32 v24, v27
	v_mad_u64_u32 v[24:25], s[0:1], s17, v25, v[24:25]
	v_add_u32_e32 v25, 0x32a, v28
	v_mad_u64_u32 v[60:61], s[0:1], s16, v25, 0
	v_mov_b32_e32 v27, v24
	v_mov_b32_e32 v24, v61
	;; [unrolled: 5-line block ×3, first 2 shown]
	v_mad_u64_u32 v[24:25], s[0:1], s17, v25, v[24:25]
	v_mov_b32_e32 v29, v24
	v_lshl_add_u64 v[24:25], v[8:9], 3, v[20:21]
	v_lshl_add_u64 v[8:9], v[26:27], 3, v[20:21]
	v_pk_add_f32 v[26:27], v[30:31], v[14:15]
	v_pk_add_f32 v[14:15], v[30:31], v[14:15] neg_lo:[0,1] neg_hi:[0,1]
	v_lshl_add_u64 v[62:63], v[2:3], 3, v[20:21]
	v_lshl_add_u64 v[64:65], v[4:5], 3, v[20:21]
	;; [unrolled: 1-line block ×8, first 2 shown]
	v_mov_b32_e32 v27, v14
	v_pk_add_f32 v[30:31], v[34:35], v[16:17] op_sel:[0,1] neg_lo:[0,1] neg_hi:[0,1]
	v_pk_add_f32 v[14:15], v[34:35], v[16:17] op_sel_hi:[0,1]
	v_pk_add_f32 v[28:29], v[32:33], v[72:73]
	v_pk_add_f32 v[16:17], v[32:33], v[72:73] neg_lo:[0,1] neg_hi:[0,1]
	v_pk_add_f32 v[32:33], v[38:39], v[74:75]
	v_pk_add_f32 v[20:21], v[38:39], v[74:75] neg_lo:[0,1] neg_hi:[0,1]
	v_mov_b32_e32 v29, v16
	v_pk_add_f32 v[34:35], v[42:43], v[50:51] neg_lo:[0,1] neg_hi:[0,1]
	v_pk_add_f32 v[16:17], v[42:43], v[50:51]
	v_mov_b32_e32 v14, v30
	v_mov_b32_e32 v33, v20
	v_pk_add_f32 v[38:39], v[18:19], v[36:37] neg_lo:[0,1] neg_hi:[0,1]
	v_pk_add_f32 v[18:19], v[18:19], v[36:37]
	v_pk_add_f32 v[36:37], v[40:41], v[48:49]
	v_pk_add_f32 v[20:21], v[40:41], v[48:49] neg_lo:[0,1] neg_hi:[0,1]
	v_pk_mul_f32 v[50:51], v[26:27], s[10:11]
	s_mov_b32 s1, 0xbf68dda4
	s_mov_b32 s0, 0x3ed4b147
	v_mov_b32_e32 v16, v35
	v_mov_b32_e32 v37, v20
	v_pk_add_f32 v[42:43], v[44:45], v[52:53] neg_lo:[0,1] neg_hi:[0,1]
	v_pk_add_f32 v[20:21], v[44:45], v[52:53]
	v_pk_add_f32 v[40:41], v[76:77], v[54:55]
	v_pk_add_f32 v[22:23], v[76:77], v[54:55] neg_lo:[0,1] neg_hi:[0,1]
	s_mov_b32 s22, s1
	s_mov_b32 s23, s0
	v_pk_fma_f32 v[48:49], v[30:31], s[4:5], v[50:51] neg_lo:[1,0,0] neg_hi:[1,0,0]
	v_pk_fma_f32 v[52:53], v[14:15], s[4:5], v[50:51]
	v_pk_mul_f32 v[54:55], v[28:29], s[0:1]
	v_mov_b32_e32 v41, v22
	v_pk_add_f32 v[44:45], v[58:59], v[56:57] neg_lo:[0,1] neg_hi:[0,1]
	v_pk_add_f32 v[22:23], v[58:59], v[56:57]
	v_mov_b32_e32 v49, v53
	v_pk_fma_f32 v[56:57], v[34:35], s[22:23], v[54:55] op_sel:[1,0,0] neg_lo:[1,0,0] neg_hi:[1,0,0]
	v_pk_fma_f32 v[58:59], v[16:17], s[22:23], v[54:55]
	v_pk_add_f32 v[48:49], v[0:1], v[48:49]
	v_mov_b32_e32 v57, v59
	v_pk_add_f32 v[48:49], v[48:49], v[56:57]
	v_mov_b32_e32 v18, v39
	v_pk_mul_f32 v[56:57], v[32:33], s[8:9]
	v_mov_b32_e32 v20, v43
	v_pk_fma_f32 v[60:61], v[38:39], s[2:3], v[56:57] op_sel:[1,0,0] neg_lo:[1,0,0] neg_hi:[1,0,0]
	v_pk_fma_f32 v[66:67], v[18:19], s[2:3], v[56:57]
	v_pk_fma_f32 v[50:51], v[14:15], s[4:5], v[50:51] neg_lo:[0,0,1] neg_hi:[0,0,1]
	v_mov_b32_e32 v61, v67
	v_pk_add_f32 v[48:49], v[48:49], v[60:61]
	v_pk_mul_f32 v[60:61], v[36:37], s[14:15]
	s_mov_b32 s16, 0xbf75a155
	v_pk_fma_f32 v[68:69], v[42:43], s[6:7], v[60:61] op_sel:[1,0,0] neg_lo:[1,0,0] neg_hi:[1,0,0]
	v_pk_fma_f32 v[70:71], v[20:21], s[6:7], v[60:61]
	v_mov_b32_e32 v53, v51
	v_pk_fma_f32 v[50:51], v[16:17], s[22:23], v[54:55] neg_lo:[0,0,1] neg_hi:[0,0,1]
	v_mov_b32_e32 v69, v71
	s_mov_b32 s17, 0xbe903f40
	v_mov_b32_e32 v59, v51
	v_pk_add_f32 v[50:51], v[0:1], v[52:53]
	v_pk_fma_f32 v[52:53], v[18:19], s[2:3], v[56:57] neg_lo:[0,0,1] neg_hi:[0,0,1]
	v_pk_add_f32 v[48:49], v[48:49], v[68:69]
	v_mov_b32_e32 v22, v45
	s_mov_b32 s12, s17
	s_mov_b32 s13, s16
	v_pk_mul_f32 v[68:69], v[40:41], s[16:17]
	v_pk_add_f32 v[50:51], v[50:51], v[58:59]
	v_mov_b32_e32 v67, v53
	v_pk_fma_f32 v[52:53], v[20:21], s[6:7], v[60:61] neg_lo:[0,0,1] neg_hi:[0,0,1]
	v_pk_fma_f32 v[72:73], v[44:45], s[12:13], v[68:69] op_sel:[1,0,0] neg_lo:[1,0,0] neg_hi:[1,0,0]
	v_pk_fma_f32 v[74:75], v[22:23], s[12:13], v[68:69]
	v_pk_add_f32 v[50:51], v[50:51], v[66:67]
	v_mov_b32_e32 v71, v53
	v_pk_fma_f32 v[52:53], v[22:23], s[12:13], v[68:69] neg_lo:[0,0,1] neg_hi:[0,0,1]
	v_mov_b32_e32 v73, v75
	v_pk_add_f32 v[50:51], v[50:51], v[70:71]
	v_mov_b32_e32 v75, v53
	v_pk_add_f32 v[50:51], v[50:51], v[74:75]
	global_store_dwordx2 v[62:63], v[50:51], off
	v_pk_mul_f32 v[50:51], v[26:27], s[0:1]
	v_pk_mul_f32 v[56:57], v[28:29], s[14:15]
	v_pk_fma_f32 v[52:53], v[30:31], s[22:23], v[50:51] neg_lo:[1,0,0] neg_hi:[1,0,0]
	v_pk_fma_f32 v[54:55], v[14:15], s[22:23], v[50:51]
	v_pk_fma_f32 v[58:59], v[34:35], s[6:7], v[56:57] op_sel:[1,0,0] neg_lo:[1,0,0] neg_hi:[1,0,0]
	v_mov_b32_e32 v53, v55
	v_pk_fma_f32 v[60:61], v[16:17], s[6:7], v[56:57]
	v_pk_add_f32 v[52:53], v[0:1], v[52:53]
	v_mov_b32_e32 v59, v61
	s_mov_b32 s28, s16
	v_pk_add_f32 v[52:53], v[52:53], v[58:59]
	s_mov_b32 s31, s16
	v_pk_mul_f32 v[58:59], v[32:33], s[28:29]
	v_pk_fma_f32 v[50:51], v[14:15], s[22:23], v[50:51] neg_lo:[0,0,1] neg_hi:[0,0,1]
	v_pk_fma_f32 v[62:63], v[38:39], s[30:31], v[58:59] op_sel:[1,0,0] neg_lo:[1,0,0] neg_hi:[1,0,0]
	v_pk_fma_f32 v[66:67], v[18:19], s[30:31], v[58:59]
	v_mov_b32_e32 v55, v51
	v_mov_b32_e32 v63, v67
	v_pk_add_f32 v[52:53], v[52:53], v[62:63]
	v_pk_mul_f32 v[62:63], v[36:37], s[26:27]
	v_pk_fma_f32 v[50:51], v[16:17], s[6:7], v[56:57] neg_lo:[0,0,1] neg_hi:[0,0,1]
	v_pk_fma_f32 v[68:69], v[42:43], s[24:25], v[62:63] op_sel:[1,0,0] neg_lo:[1,0,0] neg_hi:[1,0,0]
	v_pk_fma_f32 v[70:71], v[20:21], s[24:25], v[62:63]
	v_mov_b32_e32 v61, v51
	v_mov_b32_e32 v69, v71
	v_pk_add_f32 v[50:51], v[0:1], v[54:55]
	v_pk_fma_f32 v[54:55], v[18:19], s[30:31], v[58:59] neg_lo:[0,0,1] neg_hi:[0,0,1]
	v_pk_add_f32 v[52:53], v[52:53], v[68:69]
	v_pk_mul_f32 v[68:69], v[40:41], s[20:21]
	v_pk_add_f32 v[50:51], v[50:51], v[60:61]
	v_mov_b32_e32 v67, v55
	v_pk_fma_f32 v[54:55], v[20:21], s[24:25], v[62:63] neg_lo:[0,0,1] neg_hi:[0,0,1]
	v_pk_add_f32 v[48:49], v[48:49], v[72:73]
	v_pk_fma_f32 v[72:73], v[44:45], s[18:19], v[68:69] op_sel:[1,0,0] neg_lo:[1,0,0] neg_hi:[1,0,0]
	v_pk_fma_f32 v[74:75], v[22:23], s[18:19], v[68:69]
	v_pk_add_f32 v[50:51], v[50:51], v[66:67]
	v_mov_b32_e32 v71, v55
	v_pk_fma_f32 v[54:55], v[22:23], s[18:19], v[68:69] neg_lo:[0,0,1] neg_hi:[0,0,1]
	v_mov_b32_e32 v73, v75
	v_pk_add_f32 v[50:51], v[50:51], v[70:71]
	v_mov_b32_e32 v75, v55
	v_pk_add_f32 v[50:51], v[50:51], v[74:75]
	global_store_dwordx2 v[64:65], v[50:51], off
	v_pk_mul_f32 v[50:51], v[26:27], s[8:9]
	v_pk_mul_f32 v[58:59], v[28:29], s[28:29]
	v_pk_fma_f32 v[54:55], v[30:31], s[2:3], v[50:51] neg_lo:[1,0,0] neg_hi:[1,0,0]
	v_pk_fma_f32 v[56:57], v[14:15], s[2:3], v[50:51]
	v_pk_fma_f32 v[60:61], v[34:35], s[30:31], v[58:59] op_sel:[1,0,0] neg_lo:[1,0,0] neg_hi:[1,0,0]
	v_mov_b32_e32 v55, v57
	v_pk_fma_f32 v[62:63], v[16:17], s[30:31], v[58:59]
	v_pk_add_f32 v[54:55], v[0:1], v[54:55]
	v_mov_b32_e32 v61, v63
	s_mov_b32 s1, 0x3f68dda4
	v_pk_add_f32 v[54:55], v[54:55], v[60:61]
	s_mov_b32 s22, s1
	v_pk_mul_f32 v[60:61], v[32:33], s[0:1]
	v_pk_fma_f32 v[50:51], v[14:15], s[2:3], v[50:51] neg_lo:[0,0,1] neg_hi:[0,0,1]
	v_pk_fma_f32 v[64:65], v[38:39], s[22:23], v[60:61] op_sel:[1,0,0] neg_lo:[1,0,0] neg_hi:[1,0,0]
	v_pk_fma_f32 v[66:67], v[18:19], s[22:23], v[60:61]
	v_mov_b32_e32 v57, v51
	v_mov_b32_e32 v65, v67
	v_pk_add_f32 v[54:55], v[54:55], v[64:65]
	v_pk_mul_f32 v[64:65], v[36:37], s[10:11]
	v_pk_fma_f32 v[50:51], v[16:17], s[30:31], v[58:59] neg_lo:[0,0,1] neg_hi:[0,0,1]
	v_pk_fma_f32 v[68:69], v[42:43], s[4:5], v[64:65] op_sel:[1,0,0] neg_lo:[1,0,0] neg_hi:[1,0,0]
	v_pk_fma_f32 v[70:71], v[20:21], s[4:5], v[64:65]
	v_mov_b32_e32 v63, v51
	v_mov_b32_e32 v69, v71
	v_pk_add_f32 v[50:51], v[0:1], v[56:57]
	v_pk_fma_f32 v[56:57], v[18:19], s[22:23], v[60:61] neg_lo:[0,0,1] neg_hi:[0,0,1]
	v_pk_add_f32 v[54:55], v[54:55], v[68:69]
	v_pk_mul_f32 v[68:69], v[40:41], s[14:15]
	v_pk_add_f32 v[50:51], v[50:51], v[62:63]
	v_mov_b32_e32 v67, v57
	v_pk_fma_f32 v[56:57], v[20:21], s[4:5], v[64:65] neg_lo:[0,0,1] neg_hi:[0,0,1]
	v_pk_add_f32 v[52:53], v[52:53], v[72:73]
	v_pk_fma_f32 v[72:73], v[44:45], s[6:7], v[68:69] op_sel:[1,0,0] neg_lo:[1,0,0] neg_hi:[1,0,0]
	v_pk_fma_f32 v[74:75], v[22:23], s[6:7], v[68:69]
	v_pk_add_f32 v[50:51], v[50:51], v[66:67]
	v_mov_b32_e32 v71, v57
	v_pk_fma_f32 v[56:57], v[22:23], s[6:7], v[68:69] neg_lo:[0,0,1] neg_hi:[0,0,1]
	v_mov_b32_e32 v73, v75
	v_pk_add_f32 v[50:51], v[50:51], v[70:71]
	v_mov_b32_e32 v75, v57
	v_pk_add_f32 v[50:51], v[50:51], v[74:75]
	global_store_dwordx2 v[46:47], v[50:51], off
	v_pk_mul_f32 v[46:47], v[26:27], s[14:15]
	v_pk_mul_f32 v[58:59], v[28:29], s[26:27]
	v_pk_fma_f32 v[50:51], v[30:31], s[6:7], v[46:47] neg_lo:[1,0,0] neg_hi:[1,0,0]
	v_pk_fma_f32 v[56:57], v[14:15], s[6:7], v[46:47]
	v_pk_fma_f32 v[60:61], v[34:35], s[24:25], v[58:59] op_sel:[1,0,0] neg_lo:[1,0,0] neg_hi:[1,0,0]
	v_mov_b32_e32 v51, v57
	v_pk_fma_f32 v[62:63], v[16:17], s[24:25], v[58:59]
	v_pk_add_f32 v[50:51], v[0:1], v[50:51]
	v_mov_b32_e32 v61, v63
	v_pk_add_f32 v[50:51], v[50:51], v[60:61]
	v_pk_mul_f32 v[60:61], v[32:33], s[10:11]
	v_pk_fma_f32 v[46:47], v[14:15], s[6:7], v[46:47] neg_lo:[0,0,1] neg_hi:[0,0,1]
	v_pk_fma_f32 v[64:65], v[38:39], s[4:5], v[60:61] op_sel:[1,0,0] neg_lo:[1,0,0] neg_hi:[1,0,0]
	v_pk_fma_f32 v[66:67], v[18:19], s[4:5], v[60:61]
	v_mov_b32_e32 v57, v47
	v_mov_b32_e32 v65, v67
	v_pk_add_f32 v[50:51], v[50:51], v[64:65]
	v_pk_mul_f32 v[64:65], v[36:37], s[16:17]
	v_pk_fma_f32 v[46:47], v[16:17], s[24:25], v[58:59] neg_lo:[0,0,1] neg_hi:[0,0,1]
	v_pk_fma_f32 v[68:69], v[42:43], s[12:13], v[64:65] op_sel:[1,0,0] neg_lo:[1,0,0] neg_hi:[1,0,0]
	v_pk_fma_f32 v[70:71], v[20:21], s[12:13], v[64:65]
	v_mov_b32_e32 v63, v47
	v_mov_b32_e32 v69, v71
	v_pk_add_f32 v[46:47], v[0:1], v[56:57]
	v_pk_fma_f32 v[56:57], v[18:19], s[4:5], v[60:61] neg_lo:[0,0,1] neg_hi:[0,0,1]
	v_pk_add_f32 v[50:51], v[50:51], v[68:69]
	v_pk_mul_f32 v[68:69], v[40:41], s[0:1]
	v_pk_add_f32 v[46:47], v[46:47], v[62:63]
	v_mov_b32_e32 v67, v57
	v_pk_fma_f32 v[56:57], v[20:21], s[12:13], v[64:65] neg_lo:[0,0,1] neg_hi:[0,0,1]
	v_pk_add_f32 v[54:55], v[54:55], v[72:73]
	v_pk_fma_f32 v[72:73], v[44:45], s[22:23], v[68:69] op_sel:[1,0,0] neg_lo:[1,0,0] neg_hi:[1,0,0]
	v_pk_fma_f32 v[74:75], v[22:23], s[22:23], v[68:69]
	v_pk_add_f32 v[46:47], v[46:47], v[66:67]
	v_mov_b32_e32 v71, v57
	v_pk_fma_f32 v[56:57], v[22:23], s[22:23], v[68:69] neg_lo:[0,0,1] neg_hi:[0,0,1]
	v_mov_b32_e32 v73, v75
	v_pk_add_f32 v[46:47], v[46:47], v[70:71]
	v_mov_b32_e32 v75, v57
	v_pk_add_f32 v[46:47], v[46:47], v[74:75]
	global_store_dwordx2 v[24:25], v[46:47], off
	v_pk_mul_f32 v[24:25], v[26:27], s[16:17]
	v_pk_mul_f32 v[28:29], v[28:29], s[20:21]
	v_pk_fma_f32 v[26:27], v[30:31], s[12:13], v[24:25] neg_lo:[1,0,0] neg_hi:[1,0,0]
	v_pk_fma_f32 v[30:31], v[14:15], s[12:13], v[24:25]
	v_pk_fma_f32 v[34:35], v[34:35], s[18:19], v[28:29] op_sel:[1,0,0] neg_lo:[1,0,0] neg_hi:[1,0,0]
	v_mov_b32_e32 v27, v31
	v_pk_fma_f32 v[46:47], v[16:17], s[18:19], v[28:29]
	v_pk_add_f32 v[26:27], v[0:1], v[26:27]
	v_mov_b32_e32 v35, v47
	v_pk_mul_f32 v[32:33], v[32:33], s[14:15]
	v_pk_add_f32 v[26:27], v[26:27], v[34:35]
	v_pk_fma_f32 v[34:35], v[38:39], s[6:7], v[32:33] op_sel:[1,0,0] neg_lo:[1,0,0] neg_hi:[1,0,0]
	v_pk_fma_f32 v[38:39], v[18:19], s[6:7], v[32:33]
	v_pk_fma_f32 v[14:15], v[14:15], s[12:13], v[24:25] neg_lo:[0,0,1] neg_hi:[0,0,1]
	v_mov_b32_e32 v35, v39
	v_pk_add_f32 v[26:27], v[26:27], v[34:35]
	v_pk_mul_f32 v[34:35], v[36:37], s[0:1]
	v_mov_b32_e32 v31, v15
	v_pk_fma_f32 v[36:37], v[42:43], s[22:23], v[34:35] op_sel:[1,0,0] neg_lo:[1,0,0] neg_hi:[1,0,0]
	v_pk_fma_f32 v[42:43], v[20:21], s[22:23], v[34:35]
	v_pk_fma_f32 v[14:15], v[16:17], s[18:19], v[28:29] neg_lo:[0,0,1] neg_hi:[0,0,1]
	v_mov_b32_e32 v37, v43
	v_pk_add_f32 v[0:1], v[0:1], v[30:31]
	v_mov_b32_e32 v47, v15
	v_pk_fma_f32 v[14:15], v[18:19], s[6:7], v[32:33] neg_lo:[0,0,1] neg_hi:[0,0,1]
	v_pk_add_f32 v[26:27], v[26:27], v[36:37]
	v_pk_mul_f32 v[36:37], v[40:41], s[8:9]
	v_pk_add_f32 v[0:1], v[0:1], v[46:47]
	v_mov_b32_e32 v39, v15
	v_pk_fma_f32 v[14:15], v[20:21], s[22:23], v[34:35] neg_lo:[0,0,1] neg_hi:[0,0,1]
	v_pk_fma_f32 v[40:41], v[44:45], s[2:3], v[36:37] op_sel:[1,0,0] neg_lo:[1,0,0] neg_hi:[1,0,0]
	v_pk_fma_f32 v[44:45], v[22:23], s[2:3], v[36:37]
	v_pk_add_f32 v[0:1], v[0:1], v[38:39]
	v_mov_b32_e32 v43, v15
	v_pk_fma_f32 v[14:15], v[22:23], s[2:3], v[36:37] neg_lo:[0,0,1] neg_hi:[0,0,1]
	v_mov_b32_e32 v41, v45
	v_pk_add_f32 v[0:1], v[0:1], v[42:43]
	v_mov_b32_e32 v45, v15
	v_pk_add_f32 v[0:1], v[0:1], v[44:45]
	v_pk_add_f32 v[50:51], v[50:51], v[72:73]
	;; [unrolled: 1-line block ×3, first 2 shown]
	global_store_dwordx2 v[2:3], v[0:1], off
	global_store_dwordx2 v[4:5], v[26:27], off
	;; [unrolled: 1-line block ×6, first 2 shown]
.LBB0_25:
	s_endpgm
	.section	.rodata,"a",@progbits
	.p2align	6, 0x0
	.amdhsa_kernel fft_rtc_back_len990_factors_2_3_3_5_11_wgs_110_tpt_110_sp_op_CI_CI_sbrr_dirReg
		.amdhsa_group_segment_fixed_size 0
		.amdhsa_private_segment_fixed_size 0
		.amdhsa_kernarg_size 104
		.amdhsa_user_sgpr_count 2
		.amdhsa_user_sgpr_dispatch_ptr 0
		.amdhsa_user_sgpr_queue_ptr 0
		.amdhsa_user_sgpr_kernarg_segment_ptr 1
		.amdhsa_user_sgpr_dispatch_id 0
		.amdhsa_user_sgpr_kernarg_preload_length 0
		.amdhsa_user_sgpr_kernarg_preload_offset 0
		.amdhsa_user_sgpr_private_segment_size 0
		.amdhsa_uses_dynamic_stack 0
		.amdhsa_enable_private_segment 0
		.amdhsa_system_sgpr_workgroup_id_x 1
		.amdhsa_system_sgpr_workgroup_id_y 0
		.amdhsa_system_sgpr_workgroup_id_z 0
		.amdhsa_system_sgpr_workgroup_info 0
		.amdhsa_system_vgpr_workitem_id 0
		.amdhsa_next_free_vgpr 78
		.amdhsa_next_free_sgpr 32
		.amdhsa_accum_offset 80
		.amdhsa_reserve_vcc 1
		.amdhsa_float_round_mode_32 0
		.amdhsa_float_round_mode_16_64 0
		.amdhsa_float_denorm_mode_32 3
		.amdhsa_float_denorm_mode_16_64 3
		.amdhsa_dx10_clamp 1
		.amdhsa_ieee_mode 1
		.amdhsa_fp16_overflow 0
		.amdhsa_tg_split 0
		.amdhsa_exception_fp_ieee_invalid_op 0
		.amdhsa_exception_fp_denorm_src 0
		.amdhsa_exception_fp_ieee_div_zero 0
		.amdhsa_exception_fp_ieee_overflow 0
		.amdhsa_exception_fp_ieee_underflow 0
		.amdhsa_exception_fp_ieee_inexact 0
		.amdhsa_exception_int_div_zero 0
	.end_amdhsa_kernel
	.text
.Lfunc_end0:
	.size	fft_rtc_back_len990_factors_2_3_3_5_11_wgs_110_tpt_110_sp_op_CI_CI_sbrr_dirReg, .Lfunc_end0-fft_rtc_back_len990_factors_2_3_3_5_11_wgs_110_tpt_110_sp_op_CI_CI_sbrr_dirReg
                                        ; -- End function
	.section	.AMDGPU.csdata,"",@progbits
; Kernel info:
; codeLenInByte = 7800
; NumSgprs: 38
; NumVgprs: 78
; NumAgprs: 0
; TotalNumVgprs: 78
; ScratchSize: 0
; MemoryBound: 0
; FloatMode: 240
; IeeeMode: 1
; LDSByteSize: 0 bytes/workgroup (compile time only)
; SGPRBlocks: 4
; VGPRBlocks: 9
; NumSGPRsForWavesPerEU: 38
; NumVGPRsForWavesPerEU: 78
; AccumOffset: 80
; Occupancy: 6
; WaveLimiterHint : 1
; COMPUTE_PGM_RSRC2:SCRATCH_EN: 0
; COMPUTE_PGM_RSRC2:USER_SGPR: 2
; COMPUTE_PGM_RSRC2:TRAP_HANDLER: 0
; COMPUTE_PGM_RSRC2:TGID_X_EN: 1
; COMPUTE_PGM_RSRC2:TGID_Y_EN: 0
; COMPUTE_PGM_RSRC2:TGID_Z_EN: 0
; COMPUTE_PGM_RSRC2:TIDIG_COMP_CNT: 0
; COMPUTE_PGM_RSRC3_GFX90A:ACCUM_OFFSET: 19
; COMPUTE_PGM_RSRC3_GFX90A:TG_SPLIT: 0
	.text
	.p2alignl 6, 3212836864
	.fill 256, 4, 3212836864
	.type	__hip_cuid_808c57275c148508,@object ; @__hip_cuid_808c57275c148508
	.section	.bss,"aw",@nobits
	.globl	__hip_cuid_808c57275c148508
__hip_cuid_808c57275c148508:
	.byte	0                               ; 0x0
	.size	__hip_cuid_808c57275c148508, 1

	.ident	"AMD clang version 19.0.0git (https://github.com/RadeonOpenCompute/llvm-project roc-6.4.0 25133 c7fe45cf4b819c5991fe208aaa96edf142730f1d)"
	.section	".note.GNU-stack","",@progbits
	.addrsig
	.addrsig_sym __hip_cuid_808c57275c148508
	.amdgpu_metadata
---
amdhsa.kernels:
  - .agpr_count:     0
    .args:
      - .actual_access:  read_only
        .address_space:  global
        .offset:         0
        .size:           8
        .value_kind:     global_buffer
      - .offset:         8
        .size:           8
        .value_kind:     by_value
      - .actual_access:  read_only
        .address_space:  global
        .offset:         16
        .size:           8
        .value_kind:     global_buffer
      - .actual_access:  read_only
        .address_space:  global
        .offset:         24
        .size:           8
        .value_kind:     global_buffer
      - .actual_access:  read_only
        .address_space:  global
        .offset:         32
        .size:           8
        .value_kind:     global_buffer
      - .offset:         40
        .size:           8
        .value_kind:     by_value
      - .actual_access:  read_only
        .address_space:  global
        .offset:         48
        .size:           8
        .value_kind:     global_buffer
      - .actual_access:  read_only
        .address_space:  global
        .offset:         56
        .size:           8
        .value_kind:     global_buffer
      - .offset:         64
        .size:           4
        .value_kind:     by_value
      - .actual_access:  read_only
        .address_space:  global
        .offset:         72
        .size:           8
        .value_kind:     global_buffer
      - .actual_access:  read_only
        .address_space:  global
        .offset:         80
        .size:           8
        .value_kind:     global_buffer
      - .actual_access:  read_only
        .address_space:  global
        .offset:         88
        .size:           8
        .value_kind:     global_buffer
      - .actual_access:  write_only
        .address_space:  global
        .offset:         96
        .size:           8
        .value_kind:     global_buffer
    .group_segment_fixed_size: 0
    .kernarg_segment_align: 8
    .kernarg_segment_size: 104
    .language:       OpenCL C
    .language_version:
      - 2
      - 0
    .max_flat_workgroup_size: 110
    .name:           fft_rtc_back_len990_factors_2_3_3_5_11_wgs_110_tpt_110_sp_op_CI_CI_sbrr_dirReg
    .private_segment_fixed_size: 0
    .sgpr_count:     38
    .sgpr_spill_count: 0
    .symbol:         fft_rtc_back_len990_factors_2_3_3_5_11_wgs_110_tpt_110_sp_op_CI_CI_sbrr_dirReg.kd
    .uniform_work_group_size: 1
    .uses_dynamic_stack: false
    .vgpr_count:     78
    .vgpr_spill_count: 0
    .wavefront_size: 64
amdhsa.target:   amdgcn-amd-amdhsa--gfx950
amdhsa.version:
  - 1
  - 2
...

	.end_amdgpu_metadata
